;; amdgpu-corpus repo=ROCm/rocFFT kind=compiled arch=gfx1030 opt=O3
	.text
	.amdgcn_target "amdgcn-amd-amdhsa--gfx1030"
	.amdhsa_code_object_version 6
	.protected	fft_rtc_back_len143_factors_13_11_wgs_182_tpt_13_half_op_CI_CI_unitstride_sbrr_dirReg ; -- Begin function fft_rtc_back_len143_factors_13_11_wgs_182_tpt_13_half_op_CI_CI_unitstride_sbrr_dirReg
	.globl	fft_rtc_back_len143_factors_13_11_wgs_182_tpt_13_half_op_CI_CI_unitstride_sbrr_dirReg
	.p2align	8
	.type	fft_rtc_back_len143_factors_13_11_wgs_182_tpt_13_half_op_CI_CI_unitstride_sbrr_dirReg,@function
fft_rtc_back_len143_factors_13_11_wgs_182_tpt_13_half_op_CI_CI_unitstride_sbrr_dirReg: ; @fft_rtc_back_len143_factors_13_11_wgs_182_tpt_13_half_op_CI_CI_unitstride_sbrr_dirReg
; %bb.0:
	s_load_dwordx4 s[12:15], s[4:5], 0x0
	v_mul_u32_u24_e32 v1, 0x13b2, v0
	s_clause 0x1
	s_load_dwordx4 s[8:11], s[4:5], 0x58
	s_load_dwordx4 s[16:19], s[4:5], 0x18
	v_mov_b32_e32 v3, 0
	v_mov_b32_e32 v10, 0
	;; [unrolled: 1-line block ×3, first 2 shown]
	v_lshrrev_b32_e32 v1, 16, v1
	v_mad_u64_u32 v[8:9], null, s6, 14, v[1:2]
	v_mov_b32_e32 v9, v3
	v_mov_b32_e32 v1, v10
	;; [unrolled: 1-line block ×4, first 2 shown]
	s_waitcnt lgkmcnt(0)
	v_cmp_lt_u64_e64 s0, s[14:15], 2
	v_mov_b32_e32 v5, v9
	s_and_b32 vcc_lo, exec_lo, s0
	s_cbranch_vccnz .LBB0_8
; %bb.1:
	s_load_dwordx2 s[0:1], s[4:5], 0x10
	v_mov_b32_e32 v10, 0
	v_mov_b32_e32 v11, 0
	s_add_u32 s2, s18, 8
	v_mov_b32_e32 v6, v8
	s_addc_u32 s3, s19, 0
	v_mov_b32_e32 v1, v10
	v_mov_b32_e32 v7, v9
	s_add_u32 s6, s16, 8
	v_mov_b32_e32 v2, v11
	s_addc_u32 s7, s17, 0
	s_mov_b64 s[22:23], 1
	s_waitcnt lgkmcnt(0)
	s_add_u32 s20, s0, 8
	s_addc_u32 s21, s1, 0
.LBB0_2:                                ; =>This Inner Loop Header: Depth=1
	s_load_dwordx2 s[24:25], s[20:21], 0x0
	s_waitcnt lgkmcnt(0)
	v_or_b32_e32 v4, s25, v7
	v_cmp_ne_u64_e32 vcc_lo, 0, v[3:4]
                                        ; implicit-def: $vgpr4_vgpr5
	s_and_saveexec_b32 s0, vcc_lo
	s_xor_b32 s1, exec_lo, s0
	s_cbranch_execz .LBB0_4
; %bb.3:                                ;   in Loop: Header=BB0_2 Depth=1
	v_cvt_f32_u32_e32 v4, s24
	v_cvt_f32_u32_e32 v5, s25
	s_sub_u32 s0, 0, s24
	s_subb_u32 s26, 0, s25
	v_fmac_f32_e32 v4, 0x4f800000, v5
	v_rcp_f32_e32 v4, v4
	v_mul_f32_e32 v4, 0x5f7ffffc, v4
	v_mul_f32_e32 v5, 0x2f800000, v4
	v_trunc_f32_e32 v5, v5
	v_fmac_f32_e32 v4, 0xcf800000, v5
	v_cvt_u32_f32_e32 v5, v5
	v_cvt_u32_f32_e32 v4, v4
	v_mul_lo_u32 v9, s0, v5
	v_mul_hi_u32 v12, s0, v4
	v_mul_lo_u32 v13, s26, v4
	v_add_nc_u32_e32 v9, v12, v9
	v_mul_lo_u32 v12, s0, v4
	v_add_nc_u32_e32 v9, v9, v13
	v_mul_hi_u32 v13, v4, v12
	v_mul_lo_u32 v14, v4, v9
	v_mul_hi_u32 v15, v4, v9
	v_mul_hi_u32 v16, v5, v12
	v_mul_lo_u32 v12, v5, v12
	v_mul_hi_u32 v17, v5, v9
	v_mul_lo_u32 v9, v5, v9
	v_add_co_u32 v13, vcc_lo, v13, v14
	v_add_co_ci_u32_e32 v14, vcc_lo, 0, v15, vcc_lo
	v_add_co_u32 v12, vcc_lo, v13, v12
	v_add_co_ci_u32_e32 v12, vcc_lo, v14, v16, vcc_lo
	v_add_co_ci_u32_e32 v13, vcc_lo, 0, v17, vcc_lo
	v_add_co_u32 v9, vcc_lo, v12, v9
	v_add_co_ci_u32_e32 v12, vcc_lo, 0, v13, vcc_lo
	v_add_co_u32 v4, vcc_lo, v4, v9
	v_add_co_ci_u32_e32 v5, vcc_lo, v5, v12, vcc_lo
	v_mul_hi_u32 v9, s0, v4
	v_mul_lo_u32 v13, s26, v4
	v_mul_lo_u32 v12, s0, v5
	v_add_nc_u32_e32 v9, v9, v12
	v_mul_lo_u32 v12, s0, v4
	v_add_nc_u32_e32 v9, v9, v13
	v_mul_hi_u32 v13, v4, v12
	v_mul_lo_u32 v14, v4, v9
	v_mul_hi_u32 v15, v4, v9
	v_mul_hi_u32 v16, v5, v12
	v_mul_lo_u32 v12, v5, v12
	v_mul_hi_u32 v17, v5, v9
	v_mul_lo_u32 v9, v5, v9
	v_add_co_u32 v13, vcc_lo, v13, v14
	v_add_co_ci_u32_e32 v14, vcc_lo, 0, v15, vcc_lo
	v_add_co_u32 v12, vcc_lo, v13, v12
	v_add_co_ci_u32_e32 v12, vcc_lo, v14, v16, vcc_lo
	v_add_co_ci_u32_e32 v13, vcc_lo, 0, v17, vcc_lo
	v_add_co_u32 v9, vcc_lo, v12, v9
	v_add_co_ci_u32_e32 v12, vcc_lo, 0, v13, vcc_lo
	v_add_co_u32 v9, vcc_lo, v4, v9
	v_add_co_ci_u32_e32 v14, vcc_lo, v5, v12, vcc_lo
	v_mul_hi_u32 v16, v6, v9
	v_mad_u64_u32 v[12:13], null, v7, v9, 0
	v_mad_u64_u32 v[4:5], null, v6, v14, 0
	;; [unrolled: 1-line block ×3, first 2 shown]
	v_add_co_u32 v4, vcc_lo, v16, v4
	v_add_co_ci_u32_e32 v5, vcc_lo, 0, v5, vcc_lo
	v_add_co_u32 v4, vcc_lo, v4, v12
	v_add_co_ci_u32_e32 v4, vcc_lo, v5, v13, vcc_lo
	v_add_co_ci_u32_e32 v5, vcc_lo, 0, v15, vcc_lo
	v_add_co_u32 v9, vcc_lo, v4, v14
	v_add_co_ci_u32_e32 v12, vcc_lo, 0, v5, vcc_lo
	v_mul_lo_u32 v13, s25, v9
	v_mad_u64_u32 v[4:5], null, s24, v9, 0
	v_mul_lo_u32 v14, s24, v12
	v_sub_co_u32 v4, vcc_lo, v6, v4
	v_add3_u32 v5, v5, v14, v13
	v_sub_nc_u32_e32 v13, v7, v5
	v_subrev_co_ci_u32_e64 v13, s0, s25, v13, vcc_lo
	v_add_co_u32 v14, s0, v9, 2
	v_add_co_ci_u32_e64 v15, s0, 0, v12, s0
	v_sub_co_u32 v16, s0, v4, s24
	v_sub_co_ci_u32_e32 v5, vcc_lo, v7, v5, vcc_lo
	v_subrev_co_ci_u32_e64 v13, s0, 0, v13, s0
	v_cmp_le_u32_e32 vcc_lo, s24, v16
	v_cmp_eq_u32_e64 s0, s25, v5
	v_cndmask_b32_e64 v16, 0, -1, vcc_lo
	v_cmp_le_u32_e32 vcc_lo, s25, v13
	v_cndmask_b32_e64 v17, 0, -1, vcc_lo
	v_cmp_le_u32_e32 vcc_lo, s24, v4
	;; [unrolled: 2-line block ×3, first 2 shown]
	v_cndmask_b32_e64 v18, 0, -1, vcc_lo
	v_cmp_eq_u32_e32 vcc_lo, s25, v13
	v_cndmask_b32_e64 v4, v18, v4, s0
	v_cndmask_b32_e32 v13, v17, v16, vcc_lo
	v_add_co_u32 v16, vcc_lo, v9, 1
	v_add_co_ci_u32_e32 v17, vcc_lo, 0, v12, vcc_lo
	v_cmp_ne_u32_e32 vcc_lo, 0, v13
	v_cndmask_b32_e32 v5, v17, v15, vcc_lo
	v_cndmask_b32_e32 v13, v16, v14, vcc_lo
	v_cmp_ne_u32_e32 vcc_lo, 0, v4
	v_cndmask_b32_e32 v5, v12, v5, vcc_lo
	v_cndmask_b32_e32 v4, v9, v13, vcc_lo
.LBB0_4:                                ;   in Loop: Header=BB0_2 Depth=1
	s_andn2_saveexec_b32 s0, s1
	s_cbranch_execz .LBB0_6
; %bb.5:                                ;   in Loop: Header=BB0_2 Depth=1
	v_cvt_f32_u32_e32 v4, s24
	s_sub_i32 s1, 0, s24
	v_rcp_iflag_f32_e32 v4, v4
	v_mul_f32_e32 v4, 0x4f7ffffe, v4
	v_cvt_u32_f32_e32 v4, v4
	v_mul_lo_u32 v5, s1, v4
	v_mul_hi_u32 v5, v4, v5
	v_add_nc_u32_e32 v4, v4, v5
	v_mul_hi_u32 v4, v6, v4
	v_mul_lo_u32 v5, v4, s24
	v_add_nc_u32_e32 v9, 1, v4
	v_sub_nc_u32_e32 v5, v6, v5
	v_subrev_nc_u32_e32 v12, s24, v5
	v_cmp_le_u32_e32 vcc_lo, s24, v5
	v_cndmask_b32_e32 v5, v5, v12, vcc_lo
	v_cndmask_b32_e32 v4, v4, v9, vcc_lo
	v_cmp_le_u32_e32 vcc_lo, s24, v5
	v_add_nc_u32_e32 v9, 1, v4
	v_mov_b32_e32 v5, v3
	v_cndmask_b32_e32 v4, v4, v9, vcc_lo
.LBB0_6:                                ;   in Loop: Header=BB0_2 Depth=1
	s_or_b32 exec_lo, exec_lo, s0
	v_mul_lo_u32 v9, v5, s24
	v_mul_lo_u32 v14, v4, s25
	s_load_dwordx2 s[0:1], s[6:7], 0x0
	v_mad_u64_u32 v[12:13], null, v4, s24, 0
	s_load_dwordx2 s[24:25], s[2:3], 0x0
	s_add_u32 s22, s22, 1
	s_addc_u32 s23, s23, 0
	s_add_u32 s2, s2, 8
	s_addc_u32 s3, s3, 0
	s_add_u32 s6, s6, 8
	v_add3_u32 v9, v13, v14, v9
	v_sub_co_u32 v6, vcc_lo, v6, v12
	s_addc_u32 s7, s7, 0
	s_add_u32 s20, s20, 8
	v_sub_co_ci_u32_e32 v7, vcc_lo, v7, v9, vcc_lo
	s_addc_u32 s21, s21, 0
	s_waitcnt lgkmcnt(0)
	v_mul_lo_u32 v9, s0, v7
	v_mul_lo_u32 v12, s1, v6
	v_mad_u64_u32 v[10:11], null, s0, v6, v[10:11]
	v_mul_lo_u32 v7, s24, v7
	v_mul_lo_u32 v13, s25, v6
	v_mad_u64_u32 v[1:2], null, s24, v6, v[1:2]
	v_cmp_ge_u64_e64 s0, s[22:23], s[14:15]
	v_add3_u32 v11, v12, v11, v9
	v_add3_u32 v2, v13, v2, v7
	s_and_b32 vcc_lo, exec_lo, s0
	s_cbranch_vccnz .LBB0_8
; %bb.7:                                ;   in Loop: Header=BB0_2 Depth=1
	v_mov_b32_e32 v7, v5
	v_mov_b32_e32 v6, v4
	s_branch .LBB0_2
.LBB0_8:
	s_load_dwordx2 s[0:1], s[4:5], 0x28
	s_lshl_b64 s[4:5], s[14:15], 3
	v_mul_hi_u32 v3, 0x13b13b14, v0
	s_add_u32 s2, s18, s4
	s_addc_u32 s3, s19, s5
                                        ; implicit-def: $vgpr14
                                        ; implicit-def: $vgpr17
                                        ; implicit-def: $vgpr16
                                        ; implicit-def: $vgpr18
                                        ; implicit-def: $vgpr15
                                        ; implicit-def: $vgpr19
                                        ; implicit-def: $vgpr13
                                        ; implicit-def: $vgpr20
                                        ; implicit-def: $vgpr12
                                        ; implicit-def: $vgpr21
                                        ; implicit-def: $vgpr9
                                        ; implicit-def: $vgpr22
                                        ; implicit-def: $vgpr7
	s_load_dwordx2 s[2:3], s[2:3], 0x0
	v_mul_u32_u24_e32 v3, 13, v3
	v_sub_nc_u32_e32 v6, v0, v3
	v_mov_b32_e32 v3, 0
	s_waitcnt lgkmcnt(0)
	v_cmp_gt_u64_e32 vcc_lo, s[0:1], v[4:5]
	s_and_saveexec_b32 s1, vcc_lo
	s_cbranch_execz .LBB0_12
; %bb.9:
	s_mov_b32 s6, exec_lo
                                        ; implicit-def: $vgpr7
                                        ; implicit-def: $vgpr22
                                        ; implicit-def: $vgpr9
                                        ; implicit-def: $vgpr21
                                        ; implicit-def: $vgpr12
                                        ; implicit-def: $vgpr20
                                        ; implicit-def: $vgpr13
                                        ; implicit-def: $vgpr19
                                        ; implicit-def: $vgpr15
                                        ; implicit-def: $vgpr18
                                        ; implicit-def: $vgpr16
                                        ; implicit-def: $vgpr17
                                        ; implicit-def: $vgpr14
	v_cmpx_gt_u32_e32 11, v6
	s_cbranch_execz .LBB0_11
; %bb.10:
	s_add_u32 s4, s16, s4
	s_addc_u32 s5, s17, s5
	v_mov_b32_e32 v7, 0
	s_load_dwordx2 s[4:5], s[4:5], 0x0
	v_lshlrev_b64 v[9:10], 2, v[10:11]
	s_waitcnt lgkmcnt(0)
	v_mul_lo_u32 v0, s5, v4
	v_mul_lo_u32 v3, s4, v5
	v_mad_u64_u32 v[12:13], null, s4, v4, 0
	v_add3_u32 v13, v13, v3, v0
	v_lshlrev_b64 v[12:13], 2, v[12:13]
	v_add_co_u32 v0, s0, s8, v12
	v_add_co_ci_u32_e64 v3, s0, s9, v13, s0
	v_lshlrev_b64 v[11:12], 2, v[6:7]
	v_add_co_u32 v0, s0, v0, v9
	v_add_co_ci_u32_e64 v3, s0, v3, v10, s0
	v_add_co_u32 v10, s0, v0, v11
	v_add_co_ci_u32_e64 v11, s0, v3, v12, s0
	s_clause 0xc
	global_load_dword v14, v[10:11], off
	global_load_dword v22, v[10:11], off offset:44
	global_load_dword v21, v[10:11], off offset:88
	;; [unrolled: 1-line block ×12, first 2 shown]
.LBB0_11:
	s_or_b32 exec_lo, exec_lo, s6
	v_mov_b32_e32 v3, v6
.LBB0_12:
	s_or_b32 exec_lo, exec_lo, s1
	v_lshrrev_b32_e32 v0, 1, v8
	s_mov_b32 s1, exec_lo
	v_mul_hi_u32 v0, 0x92492493, v0
	v_lshrrev_b32_e32 v0, 2, v0
	v_mul_lo_u32 v0, v0, 14
	v_sub_nc_u32_e32 v0, v8, v0
	v_mul_u32_u24_e32 v0, 0x8f, v0
	v_lshlrev_b32_e32 v0, 2, v0
	v_cmpx_gt_u32_e32 11, v6
	s_cbranch_execz .LBB0_14
; %bb.13:
	s_waitcnt vmcnt(0)
	v_pk_add_f16 v44, v22, v7 neg_lo:[0,1] neg_hi:[0,1]
	v_pk_add_f16 v40, v22, v7
	v_pk_add_f16 v45, v21, v9 neg_lo:[0,1] neg_hi:[0,1]
	v_pk_add_f16 v38, v21, v9
	v_pk_add_f16 v46, v20, v12 neg_lo:[0,1] neg_hi:[0,1]
	v_pk_mul_f16 v84, 0xb3a8, v44 op_sel_hi:[0,1]
	v_lshrrev_b32_e32 v41, 16, v40
	v_mul_f16_e32 v34, 0xb94e, v44
	v_pk_mul_f16 v88, 0x3770, v45 op_sel_hi:[0,1]
	v_pk_add_f16 v39, v20, v12
	v_pk_fma_f16 v87, 0xbbc4, v40, v84 op_sel:[0,0,1] op_sel_hi:[0,1,0]
	v_pk_add_f16 v47, v19, v13 neg_lo:[0,1] neg_hi:[0,1]
	v_fma_f16 v48, v41, 0xb9fd, -v34
	v_lshrrev_b32_e32 v42, 16, v38
	v_mul_f16_e32 v32, 0x3bf1, v45
	v_mul_f16_e32 v36, 0xbb7b, v44
	v_mul_f16_e32 v37, 0xbbf1, v44
	v_mul_f16_e32 v27, 0xba95, v44
	v_mul_f16_e32 v33, 0xb770, v44
	v_pk_add_f16 v87, v87, v14
	v_pk_fma_f16 v91, 0x3b15, v38, v88 op_sel:[0,0,1] op_sel_hi:[0,1,0]
	v_pk_mul_f16 v92, 0xb94e, v46 op_sel_hi:[0,1]
	v_pk_add_f16 v30, v19, v13
	v_lshrrev_b32_e32 v43, 16, v39
	v_mul_f16_e32 v28, 0xba95, v46
	v_fma_f16 v50, v42, 0x2fb7, -v32
	v_mul_f16_e32 v35, 0x394e, v45
	v_fma_f16 v53, v41, 0xb5ac, -v36
	v_mul_f16_e32 v31, 0x3770, v46
	v_mul_f16_e32 v23, 0xb3a8, v45
	;; [unrolled: 1-line block ×3, first 2 shown]
	v_fma_f16 v56, v41, 0x2fb7, -v37
	v_mul_f16_e32 v25, 0xbb7b, v45
	v_mul_f16_e32 v24, 0xb3a8, v46
	;; [unrolled: 1-line block ×3, first 2 shown]
	v_fma_f16 v59, v41, 0x388b, -v27
	v_fma_f16 v62, v41, 0x3b15, -v33
	v_fmac_f16_e32 v34, 0xb9fd, v41
	v_fmac_f16_e32 v36, 0xb5ac, v41
	;; [unrolled: 1-line block ×5, first 2 shown]
	v_mul_f16_e32 v41, 0xbbf1, v46
	v_pk_add_f16 v67, v18, v15
	v_pk_add_f16 v68, v18, v15 neg_lo:[0,1] neg_hi:[0,1]
	v_pk_add_f16 v87, v91, v87
	v_add_f16_sdwa v48, v48, v14 dst_sel:DWORD dst_unused:UNUSED_PAD src0_sel:DWORD src1_sel:WORD_1
	v_pk_fma_f16 v91, 0xb9fd, v39, v92 op_sel:[0,0,1] op_sel_hi:[0,1,0]
	v_pk_mul_f16 v95, 0x3a95, v47 op_sel_hi:[0,1]
	v_lshrrev_b32_e32 v49, 16, v30
	v_mul_f16_e32 v11, 0x33a8, v47
	v_fma_f16 v51, v43, 0x388b, -v28
	v_fma_f16 v54, v42, 0xb9fd, -v35
	;; [unrolled: 1-line block ×3, first 2 shown]
	v_mul_f16_e32 v26, 0xbbf1, v47
	v_fma_f16 v57, v42, 0xbbc4, -v23
	v_fma_f16 v58, v43, 0xb5ac, -v10
	v_mul_f16_e32 v8, 0x3770, v47
	v_fma_f16 v60, v42, 0xb5ac, -v25
	v_fma_f16 v61, v43, 0xbbc4, -v24
	;; [unrolled: 1-line block ×3, first 2 shown]
	v_fmac_f16_e32 v32, 0x2fb7, v42
	v_fmac_f16_e32 v35, 0xb9fd, v42
	;; [unrolled: 1-line block ×5, first 2 shown]
	v_fma_f16 v64, v43, 0x2fb7, -v41
	v_fmac_f16_e32 v28, 0x388b, v43
	v_fmac_f16_e32 v31, 0x3b15, v43
	;; [unrolled: 1-line block ×5, first 2 shown]
	v_mul_f16_e32 v42, 0x394e, v47
	v_mul_f16_e32 v43, 0xbb7b, v47
	v_lshrrev_b32_e32 v70, 16, v67
	v_mul_f16_e32 v71, 0x3770, v68
	v_mul_f16_e32 v73, 0x33a8, v68
	;; [unrolled: 1-line block ×4, first 2 shown]
	v_pk_add_f16 v78, v17, v16
	v_pk_add_f16 v79, v17, v16 neg_lo:[0,1] neg_hi:[0,1]
	v_mul_f16_e32 v81, 0xb94e, v68
	v_add_f16_e32 v48, v50, v48
	v_pk_add_f16 v50, v91, v87
	v_pk_fma_f16 v87, 0x388b, v30, v95 op_sel:[0,0,1] op_sel_hi:[0,1,0]
	v_pk_mul_f16 v91, 0xbb7b, v68 op_sel_hi:[0,1]
	v_mov_b32_e32 v99, 0xb94e
	v_fma_f16 v52, v49, 0xbbc4, -v11
	v_fma_f16 v65, v49, 0x2fb7, -v26
	v_fmac_f16_e32 v11, 0xbbc4, v49
	v_fmac_f16_e32 v26, 0x2fb7, v49
	v_fma_f16 v66, v49, 0x3b15, -v8
	v_fmac_f16_e32 v8, 0x3b15, v49
	v_fma_f16 v69, v49, 0xb9fd, -v42
	;; [unrolled: 2-line block ×7, first 2 shown]
	v_fmac_f16_e32 v76, 0x2fb7, v70
	v_lshrrev_b32_e32 v82, 16, v78
	v_mul_f16_e32 v83, 0xbb7b, v79
	v_fma_f16 v85, v70, 0xb9fd, -v81
	v_fmac_f16_e32 v81, 0xb9fd, v70
	v_mul_f16_e32 v70, 0x3a95, v79
	v_mul_f16_e32 v90, 0xb94e, v79
	;; [unrolled: 1-line block ×4, first 2 shown]
	v_add_f16_e32 v48, v51, v48
	v_pk_add_f16 v50, v87, v50
	v_pk_fma_f16 v51, 0xb5ac, v67, v91 op_sel:[0,0,1] op_sel_hi:[0,1,0]
	v_mov_b32_e32 v100, 0xbb7b
	v_mul_f16_sdwa v103, v44, v99 dst_sel:DWORD dst_unused:UNUSED_PAD src0_sel:WORD_1 src1_sel:DWORD
	v_mov_b32_e32 v111, 0x3bf1
	v_fma_f16 v86, v82, 0xb5ac, -v83
	v_fmac_f16_e32 v83, 0xb5ac, v82
	v_fma_f16 v89, v82, 0x388b, -v70
	v_fmac_f16_e32 v70, 0x388b, v82
	;; [unrolled: 2-line block ×5, first 2 shown]
	v_add_f16_e32 v48, v52, v48
	v_mov_b32_e32 v52, 0x33a8
	v_pk_add_f16 v50, v51, v50
	v_mov_b32_e32 v51, 0x3a95
	v_mov_b32_e32 v82, 0x3b7b
	;; [unrolled: 1-line block ×6, first 2 shown]
	v_mul_f16_sdwa v105, v44, v100 dst_sel:DWORD dst_unused:UNUSED_PAD src0_sel:WORD_1 src1_sel:DWORD
	v_mov_b32_e32 v107, 0x3770
	v_mov_b32_e32 v112, 0xb3a8
	v_mul_f16_sdwa v114, v45, v111 dst_sel:DWORD dst_unused:UNUSED_PAD src0_sel:WORD_1 src1_sel:DWORD
	v_pk_mul_f16 v118, 0x3bf1, v79 op_sel_hi:[0,1]
	v_fmamk_f16 v119, v40, 0xb9fd, v103
	v_add_f16_e32 v48, v49, v48
	v_mul_f16_sdwa v49, v47, v52 dst_sel:DWORD dst_unused:UNUSED_PAD src0_sel:WORD_1 src1_sel:DWORD
	v_mul_f16_sdwa v52, v68, v52 dst_sel:DWORD dst_unused:UNUSED_PAD src0_sel:WORD_1 src1_sel:DWORD
	;; [unrolled: 1-line block ×25, first 2 shown]
	v_pk_fma_f16 v121, 0x2fb7, v78, v118 op_sel:[0,0,1] op_sel_hi:[0,1,0]
	v_add_f16_e32 v119, v119, v14
	v_fmamk_f16 v122, v38, 0x2fb7, v114
	v_mul_f16_sdwa v107, v79, v107 dst_sel:DWORD dst_unused:UNUSED_PAD src0_sel:WORD_1 src1_sel:DWORD
	v_mul_f16_sdwa v79, v79, v112 dst_sel:DWORD dst_unused:UNUSED_PAD src0_sel:WORD_1 src1_sel:DWORD
	v_fmamk_f16 v112, v40, 0xb5ac, v105
	v_pk_add_f16 v50, v121, v50
	v_add_f16_e32 v119, v122, v119
	v_add_f16_sdwa v53, v53, v14 dst_sel:DWORD dst_unused:UNUSED_PAD src0_sel:DWORD src1_sel:WORD_1
	v_fmamk_f16 v121, v39, 0x388b, v116
	v_add_f16_e32 v112, v112, v14
	v_fmamk_f16 v122, v38, 0xb9fd, v108
	v_add_f16_e32 v48, v86, v48
	v_add_f16_e32 v53, v54, v53
	;; [unrolled: 1-line block ×3, first 2 shown]
	v_fmamk_f16 v86, v30, 0xbbc4, v49
	v_add_f16_e32 v112, v122, v112
	v_add_f16_sdwa v56, v56, v14 dst_sel:DWORD dst_unused:UNUSED_PAD src0_sel:DWORD src1_sel:WORD_1
	v_fmamk_f16 v119, v39, 0x3b15, v120
	v_add_f16_e32 v53, v55, v53
	v_add_f16_e32 v54, v86, v54
	v_fmamk_f16 v55, v67, 0x3b15, v117
	v_add_f16_e32 v56, v57, v56
	v_add_f16_e32 v57, v119, v112
	;; [unrolled: 3-line block ×4, first 2 shown]
	v_fmamk_f16 v58, v67, 0xbbc4, v52
	v_fmamk_f16 v65, v38, 0xbbc4, v115
	v_add_f16_e32 v54, v55, v54
	v_fmamk_f16 v55, v40, 0x2fb7, v106
	v_add_f16_e32 v56, v66, v56
	v_add_f16_e32 v57, v58, v57
	v_fmamk_f16 v58, v78, 0x388b, v51
	v_fma_f16 v66, v38, 0x2fb7, -v114
	v_add_f16_e32 v55, v55, v14
	v_add_f16_sdwa v34, v34, v14 dst_sel:DWORD dst_unused:UNUSED_PAD src0_sel:DWORD src1_sel:WORD_1
	v_add_f16_e32 v53, v75, v53
	v_add_f16_e32 v57, v58, v57
	v_add_f16_sdwa v58, v59, v14 dst_sel:DWORD dst_unused:UNUSED_PAD src0_sel:DWORD src1_sel:WORD_1
	v_fmamk_f16 v59, v40, 0x388b, v44
	v_add_f16_e32 v55, v65, v55
	v_fmamk_f16 v65, v39, 0xb5ac, v82
	v_add_f16_e32 v56, v77, v56
	v_add_f16_e32 v58, v60, v58
	;; [unrolled: 1-line block ×3, first 2 shown]
	v_fmamk_f16 v60, v38, 0xb5ac, v100
	v_add_f16_e32 v55, v65, v55
	v_fmamk_f16 v65, v30, 0x3b15, v110
	v_add_f16_e32 v58, v61, v58
	v_add_f16_sdwa v61, v62, v14 dst_sel:DWORD dst_unused:UNUSED_PAD src0_sel:DWORD src1_sel:WORD_1
	v_add_f16_e32 v59, v60, v59
	v_fmamk_f16 v60, v39, 0xbbc4, v46
	v_add_f16_e32 v55, v65, v55
	v_fmamk_f16 v62, v67, 0x388b, v102
	;; [unrolled: 2-line block ×4, first 2 shown]
	v_add_f16_e32 v55, v62, v55
	v_add_f16_e32 v61, v64, v61
	v_fmamk_f16 v62, v40, 0x3b15, v98
	v_add_f16_e32 v58, v69, v58
	v_add_f16_e32 v59, v60, v59
	v_fmamk_f16 v60, v67, 0x2fb7, v111
	v_add_f16_e32 v61, v72, v61
	v_add_f16_e32 v62, v62, v14
	v_pk_fma_f16 v65, 0xbbc4, v40, v84 op_sel:[0,0,1] op_sel_hi:[0,1,0] neg_lo:[0,0,1] neg_hi:[0,0,1]
	v_add_f16_e32 v58, v80, v58
	v_add_f16_e32 v59, v60, v59
	;; [unrolled: 1-line block ×3, first 2 shown]
	v_fmamk_f16 v61, v78, 0x3b15, v107
	v_add_f16_e32 v62, v63, v62
	v_fmamk_f16 v63, v39, 0x2fb7, v101
	v_pk_fma_f16 v69, 0x3b15, v38, v88 op_sel:[0,0,1] op_sel_hi:[0,1,0] neg_lo:[0,0,1] neg_hi:[0,0,1]
	v_pk_add_f16 v65, v65, v14
	v_add_f16_e32 v59, v61, v59
	v_fmamk_f16 v80, v30, 0xb5ac, v47
	v_add_f16_e32 v61, v63, v62
	v_fma_f16 v62, v40, 0xb9fd, -v103
	v_fma_f16 v72, v38, 0xb9fd, -v108
	;; [unrolled: 1-line block ×5, first 2 shown]
	v_add_f16_e32 v62, v62, v14
	v_pk_add_f16 v45, v69, v65
	v_fma_f16 v65, v39, 0x388b, -v116
	v_pk_fma_f16 v84, 0xb9fd, v39, v92 op_sel:[0,0,1] op_sel_hi:[0,1,0] neg_lo:[0,0,1] neg_hi:[0,0,1]
	v_add_f16_e32 v61, v80, v61
	v_fmamk_f16 v86, v67, 0xb9fd, v68
	v_add_f16_e32 v32, v32, v34
	v_add_f16_e32 v34, v66, v62
	;; [unrolled: 1-line block ×3, first 2 shown]
	v_fma_f16 v63, v40, 0xb5ac, -v105
	v_pk_add_f16 v45, v84, v45
	v_fma_f16 v49, v30, 0xbbc4, -v49
	v_fma_f16 v80, v30, 0x2fb7, -v109
	;; [unrolled: 1-line block ×4, first 2 shown]
	v_pk_fma_f16 v87, 0x388b, v30, v95 op_sel:[0,0,1] op_sel_hi:[0,1,0] neg_lo:[0,0,1] neg_hi:[0,0,1]
	v_fma_f16 v30, v30, 0xb5ac, -v47
	v_add_f16_e32 v47, v86, v61
	v_fmamk_f16 v86, v78, 0xbbc4, v79
	v_add_f16_e32 v28, v28, v32
	v_add_f16_e32 v32, v65, v34
	v_fmamk_f16 v64, v78, 0xb9fd, v99
	v_fma_f16 v61, v67, 0x3b15, -v117
	v_add_f16_e32 v34, v86, v47
	v_add_f16_sdwa v36, v36, v14 dst_sel:DWORD dst_unused:UNUSED_PAD src0_sel:DWORD src1_sel:WORD_1
	v_add_f16_e32 v47, v63, v14
	v_add_f16_e32 v11, v11, v28
	;; [unrolled: 1-line block ×3, first 2 shown]
	v_pk_add_f16 v22, v22, v14
	v_add_f16_e32 v55, v64, v55
	v_fma_f16 v64, v40, 0x2fb7, -v106
	v_fma_f16 v69, v39, 0x3b15, -v120
	v_add_f16_e32 v32, v35, v36
	v_add_f16_e32 v35, v72, v47
	v_fma_f16 v36, v78, 0xb5ac, -v113
	v_add_f16_e32 v28, v61, v28
	v_pk_add_f16 v21, v21, v22
	v_add_f16_e32 v31, v31, v32
	v_add_f16_e32 v32, v69, v35
	v_fma_f16 v82, v39, 0xb5ac, -v82
	v_add_f16_e32 v28, v36, v28
	v_add_f16_sdwa v36, v37, v14 dst_sel:DWORD dst_unused:UNUSED_PAD src0_sel:DWORD src1_sel:WORD_1
	v_add_f16_e32 v37, v64, v14
	v_pk_add_f16 v20, v20, v21
	v_add_f16_e32 v26, v26, v31
	v_add_f16_e32 v31, v80, v32
	;; [unrolled: 1-line block ×4, first 2 shown]
	v_pk_add_f16 v19, v19, v20
	v_fma_f16 v44, v40, 0x388b, -v44
	v_fma_f16 v40, v40, 0x3b15, -v98
	v_add_f16_e32 v10, v10, v23
	v_add_f16_e32 v23, v82, v32
	v_pk_add_f16 v18, v18, v19
	v_add_f16_sdwa v19, v27, v14 dst_sel:DWORD dst_unused:UNUSED_PAD src0_sel:DWORD src1_sel:WORD_1
	v_fma_f16 v46, v39, 0xbbc4, -v46
	v_add_f16_e32 v8, v8, v10
	v_add_f16_e32 v10, v84, v23
	v_add_f16_e32 v23, v44, v14
	v_pk_add_f16 v17, v17, v18
	v_add_f16_e32 v18, v25, v19
	v_fma_f16 v39, v39, 0x2fb7, -v101
	v_fma_f16 v66, v67, 0x2fb7, -v111
	v_add_f16_e32 v19, v77, v23
	v_add_f16_sdwa v23, v33, v14 dst_sel:DWORD dst_unused:UNUSED_PAD src0_sel:DWORD src1_sel:WORD_1
	v_add_f16_e32 v14, v40, v14
	v_pk_add_f16 v16, v16, v17
	v_add_f16_e32 v17, v24, v18
	v_add_f16_e32 v18, v46, v19
	;; [unrolled: 1-line block ×4, first 2 shown]
	v_pk_add_f16 v15, v15, v16
	v_add_f16_e32 v16, v42, v17
	v_add_f16_e32 v17, v85, v18
	;; [unrolled: 1-line block ×4, first 2 shown]
	v_pk_add_f16 v13, v13, v15
	v_pk_add_f16 v45, v87, v45
	v_fma_f16 v52, v67, 0xbbc4, -v52
	v_fma_f16 v62, v67, 0x388b, -v102
	;; [unrolled: 1-line block ×3, first 2 shown]
	v_pk_fma_f16 v67, 0xb5ac, v67, v91 op_sel:[0,0,1] op_sel_hi:[0,1,0] neg_lo:[0,0,1] neg_hi:[0,0,1]
	v_add_f16_e32 v22, v73, v26
	v_fma_f16 v47, v78, 0x388b, -v51
	v_fma_f16 v51, v78, 0x3b15, -v107
	v_add_f16_e32 v15, v76, v16
	v_add_f16_e32 v16, v66, v17
	;; [unrolled: 1-line block ×4, first 2 shown]
	v_pk_add_f16 v12, v12, v13
	v_add_f16_e32 v58, v96, v58
	v_pk_add_f16 v45, v67, v45
	v_pk_fma_f16 v65, 0x2fb7, v78, v118 op_sel:[0,0,1] op_sel_hi:[0,1,0] neg_lo:[0,0,1] neg_hi:[0,0,1]
	v_add_f16_e32 v21, v70, v22
	v_mul_u32_u24_e32 v22, 52, v6
	v_add_f16_e32 v53, v89, v53
	v_add_f16_e32 v56, v93, v56
	;; [unrolled: 1-line block ×4, first 2 shown]
	v_fma_f16 v49, v78, 0xb9fd, -v99
	v_add_f16_e32 v8, v74, v8
	v_add_f16_e32 v10, v62, v10
	v_fma_f16 v63, v78, 0xbbc4, -v79
	v_add_f16_e32 v13, v94, v15
	v_add_f16_e32 v15, v51, v16
	;; [unrolled: 1-line block ×4, first 2 shown]
	v_pk_add_f16 v9, v9, v12
	v_pk_add_f16 v35, v65, v45
	v_add3_u32 v22, 0, v22, v0
	v_pack_b32_f16 v12, v59, v58
	v_pack_b32_f16 v17, v34, v60
	v_add_f16_e32 v11, v83, v11
	v_add_f16_e32 v20, v47, v26
	v_pack_b32_f16 v18, v57, v53
	v_pack_b32_f16 v19, v55, v56
	v_add_f16_e32 v8, v90, v8
	v_add_f16_e32 v10, v49, v10
	;; [unrolled: 1-line block ×4, first 2 shown]
	v_pk_add_f16 v7, v7, v9
	v_pack_b32_f16 v9, v54, v48
	ds_write2_b32 v22, v17, v12 offset0:1 offset1:2
	ds_write2_b32 v22, v19, v18 offset0:3 offset1:4
	v_bfi_b32 v12, 0xffff, v35, v50
	v_bfi_b32 v17, 0xffff, v50, v35
	v_pack_b32_f16 v18, v20, v21
	v_pack_b32_f16 v11, v28, v11
	;; [unrolled: 1-line block ×5, first 2 shown]
	ds_write2_b32 v22, v7, v9 offset1:5
	ds_write2_b32 v22, v17, v12 offset0:6 offset1:7
	ds_write2_b32 v22, v11, v18 offset0:8 offset1:9
	;; [unrolled: 1-line block ×3, first 2 shown]
	ds_write_b32 v22, v10 offset:48
.LBB0_14:
	s_or_b32 exec_lo, exec_lo, s1
	s_waitcnt vmcnt(0) lgkmcnt(0)
	s_barrier
	buffer_gl0_inv
	s_and_saveexec_b32 s0, vcc_lo
	s_cbranch_execz .LBB0_16
; %bb.15:
	v_mul_u32_u24_e32 v7, 10, v6
	v_mul_lo_u32 v19, s3, v4
	v_mul_lo_u32 v5, s2, v5
	v_mad_u64_u32 v[17:18], null, s2, v4, 0
	v_lshlrev_b32_e32 v11, 2, v7
	v_lshlrev_b32_e32 v21, 2, v6
	v_mov_b32_e32 v4, 0
	v_lshlrev_b64 v[1:2], 2, v[1:2]
	s_clause 0x2
	global_load_dwordx4 v[7:10], v11, s[12:13]
	global_load_dwordx2 v[15:16], v11, s[12:13] offset:32
	global_load_dwordx4 v[11:14], v11, s[12:13] offset:16
	v_add3_u32 v25, 0, v21, v0
	v_add3_u32 v18, v18, v5, v19
	ds_read2_b32 v[5:6], v25 offset0:13 offset1:26
	ds_read2_b32 v[19:20], v25 offset0:117 offset1:130
	v_lshlrev_b64 v[17:18], 2, v[17:18]
	v_add3_u32 v0, 0, v0, v21
	ds_read2_b32 v[21:22], v25 offset0:39 offset1:52
	ds_read2_b32 v[23:24], v25 offset0:91 offset1:104
	;; [unrolled: 1-line block ×3, first 2 shown]
	v_lshlrev_b64 v[3:4], 2, v[3:4]
	v_add_co_u32 v17, vcc_lo, s10, v17
	v_add_co_ci_u32_e32 v18, vcc_lo, s11, v18, vcc_lo
	v_add_co_u32 v1, vcc_lo, v17, v1
	v_add_co_ci_u32_e32 v2, vcc_lo, v18, v2, vcc_lo
	ds_read_b32 v17, v0
	v_add_co_u32 v0, vcc_lo, v1, v3
	v_add_co_ci_u32_e32 v1, vcc_lo, v2, v4, vcc_lo
	s_waitcnt lgkmcnt(5)
	v_lshrrev_b32_e32 v2, 16, v5
	s_waitcnt lgkmcnt(4)
	v_lshrrev_b32_e32 v3, 16, v20
	v_lshrrev_b32_e32 v4, 16, v6
	s_waitcnt lgkmcnt(3)
	v_lshrrev_b32_e32 v27, 16, v21
	s_waitcnt lgkmcnt(2)
	v_lshrrev_b32_e32 v28, 16, v24
	v_lshrrev_b32_e32 v29, 16, v22
	;; [unrolled: 1-line block ×3, first 2 shown]
	s_waitcnt lgkmcnt(1)
	v_lshrrev_b32_e32 v32, 16, v26
	v_lshrrev_b32_e32 v18, 16, v19
	;; [unrolled: 1-line block ×3, first 2 shown]
	s_waitcnt vmcnt(2)
	v_mul_f16_sdwa v33, v7, v2 dst_sel:DWORD dst_unused:UNUSED_PAD src0_sel:WORD_1 src1_sel:DWORD
	s_waitcnt vmcnt(1)
	v_mul_f16_sdwa v34, v16, v3 dst_sel:DWORD dst_unused:UNUSED_PAD src0_sel:WORD_1 src1_sel:DWORD
	v_mul_f16_sdwa v35, v20, v16 dst_sel:DWORD dst_unused:UNUSED_PAD src0_sel:DWORD src1_sel:WORD_1
	v_mul_f16_sdwa v36, v7, v5 dst_sel:DWORD dst_unused:UNUSED_PAD src0_sel:WORD_1 src1_sel:DWORD
	v_mul_f16_sdwa v37, v8, v4 dst_sel:DWORD dst_unused:UNUSED_PAD src0_sel:WORD_1 src1_sel:DWORD
	v_mul_f16_sdwa v39, v19, v15 dst_sel:DWORD dst_unused:UNUSED_PAD src0_sel:DWORD src1_sel:WORD_1
	v_mul_f16_sdwa v40, v8, v6 dst_sel:DWORD dst_unused:UNUSED_PAD src0_sel:WORD_1 src1_sel:DWORD
	v_mul_f16_sdwa v41, v9, v27 dst_sel:DWORD dst_unused:UNUSED_PAD src0_sel:WORD_1 src1_sel:DWORD
	s_waitcnt vmcnt(0)
	v_mul_f16_sdwa v42, v14, v28 dst_sel:DWORD dst_unused:UNUSED_PAD src0_sel:WORD_1 src1_sel:DWORD
	v_mul_f16_sdwa v44, v9, v21 dst_sel:DWORD dst_unused:UNUSED_PAD src0_sel:WORD_1 src1_sel:DWORD
	;; [unrolled: 1-line block ×4, first 2 shown]
	v_mul_f16_sdwa v47, v23, v13 dst_sel:DWORD dst_unused:UNUSED_PAD src0_sel:DWORD src1_sel:WORD_1
	v_mul_f16_sdwa v48, v10, v22 dst_sel:DWORD dst_unused:UNUSED_PAD src0_sel:WORD_1 src1_sel:DWORD
	v_mul_f16_sdwa v50, v12, v32 dst_sel:DWORD dst_unused:UNUSED_PAD src0_sel:WORD_1 src1_sel:DWORD
	v_mul_f16_sdwa v51, v26, v12 dst_sel:DWORD dst_unused:UNUSED_PAD src0_sel:DWORD src1_sel:WORD_1
	v_fmac_f16_e32 v33, v7, v5
	v_fmac_f16_e32 v34, v16, v20
	v_fma_f16 v3, v16, v3, -v35
	v_fma_f16 v2, v7, v2, -v36
	v_mul_f16_sdwa v43, v24, v14 dst_sel:DWORD dst_unused:UNUSED_PAD src0_sel:DWORD src1_sel:WORD_1
	v_mul_f16_sdwa v38, v15, v18 dst_sel:DWORD dst_unused:UNUSED_PAD src0_sel:WORD_1 src1_sel:DWORD
	v_fmac_f16_e32 v37, v8, v6
	v_fma_f16 v5, v15, v18, -v39
	v_fma_f16 v4, v8, v4, -v40
	v_fmac_f16_e32 v41, v9, v21
	v_fmac_f16_e32 v42, v14, v24
	v_fma_f16 v7, v9, v27, -v44
	v_fmac_f16_e32 v45, v10, v22
	v_fmac_f16_e32 v46, v13, v23
	v_fma_f16 v8, v13, v30, -v47
	v_fma_f16 v9, v10, v29, -v48
	v_fmac_f16_e32 v50, v12, v26
	v_fma_f16 v10, v12, v32, -v51
	v_sub_f16_e32 v12, v33, v34
	v_add_f16_e32 v13, v2, v3
	v_add_f16_e32 v23, v33, v34
	v_sub_f16_e32 v24, v2, v3
	s_waitcnt lgkmcnt(0)
	v_add_f16_sdwa v2, v2, v17 dst_sel:DWORD dst_unused:UNUSED_PAD src0_sel:DWORD src1_sel:WORD_1
	v_add_f16_e32 v33, v33, v17
	v_mul_f16_sdwa v49, v11, v31 dst_sel:DWORD dst_unused:UNUSED_PAD src0_sel:WORD_1 src1_sel:DWORD
	v_mul_f16_sdwa v52, v11, v25 dst_sel:DWORD dst_unused:UNUSED_PAD src0_sel:WORD_1 src1_sel:DWORD
	v_fma_f16 v6, v14, v28, -v43
	v_fmac_f16_e32 v38, v15, v19
	v_add_f16_e32 v15, v4, v5
	v_sub_f16_e32 v26, v4, v5
	v_add_f16_e32 v2, v2, v4
	v_add_f16_e32 v4, v33, v37
	v_fmac_f16_e32 v49, v11, v25
	v_fma_f16 v11, v11, v31, -v52
	v_sub_f16_e32 v16, v41, v42
	v_add_f16_e32 v18, v7, v6
	v_add_f16_e32 v2, v2, v7
	;; [unrolled: 1-line block ×3, first 2 shown]
	v_sub_f16_e32 v14, v37, v38
	v_sub_f16_e32 v19, v45, v46
	v_add_f16_e32 v20, v9, v8
	v_sub_f16_e32 v21, v49, v50
	v_add_f16_e32 v22, v11, v10
	v_sub_f16_e32 v28, v7, v6
	v_sub_f16_e32 v30, v9, v8
	;; [unrolled: 1-line block ×3, first 2 shown]
	v_mul_f16_e32 v35, 0xb482, v12
	v_mul_f16_e32 v39, 0xba0c, v16
	;; [unrolled: 1-line block ×15, first 2 shown]
	v_add_f16_e32 v2, v2, v9
	v_add_f16_e32 v4, v4, v45
	;; [unrolled: 1-line block ×6, first 2 shown]
	v_mul_f16_e32 v36, 0x3853, v14
	v_mul_f16_e32 v40, 0x3b47, v19
	;; [unrolled: 1-line block ×35, first 2 shown]
	v_fmamk_f16 v33, v13, 0xbbad, v35
	v_fmamk_f16 v88, v18, 0xb93d, v39
	v_fma_f16 v91, v23, 0xbbad, -v44
	v_fma_f16 v13, v13, 0xbbad, -v35
	;; [unrolled: 1-line block ×3, first 2 shown]
	v_fmamk_f16 v35, v12, 0x3a0c, v53
	v_fmamk_f16 v39, v16, 0x3853, v55
	;; [unrolled: 1-line block ×8, first 2 shown]
	v_fmac_f16_e32 v55, 0xb853, v16
	v_fmac_f16_e32 v65, 0x3b47, v16
	;; [unrolled: 1-line block ×4, first 2 shown]
	v_fmamk_f16 v16, v23, 0x3abb, v24
	v_fmac_f16_e32 v44, 0xbbad, v23
	v_fmamk_f16 v101, v12, 0x3beb, v63
	v_fmamk_f16 v111, v12, 0x3b47, v73
	;; [unrolled: 1-line block ×3, first 2 shown]
	v_fmac_f16_e32 v53, 0xba0c, v12
	v_fma_f16 v58, v23, 0xb93d, -v58
	v_fmac_f16_e32 v63, 0xbbeb, v12
	v_fma_f16 v68, v23, 0xb08e, -v68
	;; [unrolled: 2-line block ×3, first 2 shown]
	v_add_f16_e32 v2, v2, v11
	v_add_f16_e32 v4, v4, v49
	v_fmamk_f16 v37, v15, 0x3abb, v36
	v_fmamk_f16 v89, v20, 0x36a6, v40
	v_fmamk_f16 v90, v22, 0xb08e, v43
	v_fma_f16 v92, v25, 0x3abb, -v47
	v_fma_f16 v93, v27, 0xb93d, -v48
	;; [unrolled: 1-line block ×6, first 2 shown]
	v_fmac_f16_e32 v47, 0x3abb, v25
	v_fmac_f16_e32 v48, 0xb93d, v27
	;; [unrolled: 1-line block ×3, first 2 shown]
	v_fmamk_f16 v36, v14, 0xbbeb, v54
	v_fmamk_f16 v40, v19, 0x3482, v56
	;; [unrolled: 1-line block ×19, first 2 shown]
	v_fmac_f16_e32 v83, 0xb853, v12
	v_fmamk_f16 v12, v19, 0x3a0c, v86
	v_fmac_f16_e32 v54, 0x3beb, v14
	v_fmac_f16_e32 v64, 0x3482, v14
	v_fmac_f16_e32 v74, 0xba0c, v14
	v_fmac_f16_e32 v84, 0xbb47, v14
	v_fmamk_f16 v14, v21, 0x3482, v87
	v_fmac_f16_e32 v56, 0xb482, v19
	v_fmac_f16_e32 v66, 0xb853, v19
	v_fmac_f16_e32 v76, 0x3beb, v19
	;; [unrolled: 5-line block ×3, first 2 shown]
	v_fmac_f16_e32 v87, 0xb482, v21
	v_fmamk_f16 v21, v27, 0xb08e, v28
	v_fma_f16 v23, v23, 0x3abb, -v24
	v_fmamk_f16 v24, v29, 0xb93d, v30
	v_fma_f16 v59, v25, 0xb08e, -v59
	v_fma_f16 v69, v25, 0xbbad, -v69
	;; [unrolled: 1-line block ×4, first 2 shown]
	v_fmamk_f16 v26, v31, 0xbbad, v32
	v_fma_f16 v60, v27, 0x3abb, -v60
	v_fma_f16 v61, v29, 0xbbad, -v61
	;; [unrolled: 1-line block ×9, first 2 shown]
	v_add_f16_sdwa v7, v33, v17 dst_sel:DWORD dst_unused:UNUSED_PAD src0_sel:DWORD src1_sel:WORD_1
	v_add_f16_e32 v30, v91, v17
	v_add_f16_sdwa v32, v35, v17 dst_sel:DWORD dst_unused:UNUSED_PAD src0_sel:DWORD src1_sel:WORD_1
	v_add_f16_e32 v33, v96, v17
	v_add_f16_e32 v41, v106, v17
	v_add_f16_sdwa v96, v121, v17 dst_sel:DWORD dst_unused:UNUSED_PAD src0_sel:DWORD src1_sel:WORD_1
	v_add_f16_e32 v16, v16, v17
	v_fma_f16 v95, v31, 0xb08e, -v52
	v_fmac_f16_e32 v52, 0xb08e, v31
	v_fmamk_f16 v100, v31, 0x36a6, v62
	v_fmamk_f16 v110, v31, 0xb93d, v72
	;; [unrolled: 1-line block ×3, first 2 shown]
	v_fma_f16 v62, v31, 0x36a6, -v62
	v_fma_f16 v72, v31, 0xb93d, -v72
	;; [unrolled: 1-line block ×3, first 2 shown]
	v_add_f16_sdwa v13, v13, v17 dst_sel:DWORD dst_unused:UNUSED_PAD src0_sel:DWORD src1_sel:WORD_1
	v_add_f16_e32 v31, v44, v17
	v_add_f16_sdwa v35, v101, v17 dst_sel:DWORD dst_unused:UNUSED_PAD src0_sel:DWORD src1_sel:WORD_1
	v_add_f16_sdwa v44, v111, v17 dst_sel:DWORD dst_unused:UNUSED_PAD src0_sel:DWORD src1_sel:WORD_1
	v_add_f16_e32 v91, v116, v17
	v_add_f16_sdwa v53, v53, v17 dst_sel:DWORD dst_unused:UNUSED_PAD src0_sel:DWORD src1_sel:WORD_1
	v_add_f16_e32 v58, v58, v17
	;; [unrolled: 2-line block ×4, first 2 shown]
	v_add_f16_e32 v2, v2, v10
	v_add_f16_e32 v4, v4, v50
	v_add_f16_sdwa v83, v83, v17 dst_sel:DWORD dst_unused:UNUSED_PAD src0_sel:DWORD src1_sel:WORD_1
	v_add_f16_e32 v17, v23, v17
	v_add_f16_e32 v7, v7, v37
	;; [unrolled: 1-line block ×85, first 2 shown]
	v_add_f16_sdwa v2, v3, v2 dst_sel:WORD_1 dst_unused:UNUSED_PAD src0_sel:DWORD src1_sel:DWORD
	v_add_f16_e32 v3, v34, v4
	v_add_f16_e32 v25, v32, v87
	;; [unrolled: 1-line block ×3, first 2 shown]
	v_pack_b32_f16 v5, v14, v12
	v_pack_b32_f16 v7, v8, v7
	v_pack_b32_f16 v12, v22, v20
	v_pack_b32_f16 v8, v19, v16
	v_pack_b32_f16 v14, v18, v15
	v_pack_b32_f16 v9, v10, v9
	v_pack_b32_f16 v10, v23, v21
	v_pack_b32_f16 v11, v13, v11
	v_pack_b32_f16 v6, v6, v24
	v_or_b32_sdwa v2, v2, v3 dst_sel:DWORD dst_unused:UNUSED_PAD src0_sel:DWORD src1_sel:WORD_0
	v_pack_b32_f16 v13, v17, v25
	global_store_dword v[0:1], v5, off offset:52
	global_store_dword v[0:1], v12, off offset:104
	;; [unrolled: 1-line block ×9, first 2 shown]
	global_store_dword v[0:1], v2, off
	global_store_dword v[0:1], v13, off offset:520
.LBB0_16:
	s_endpgm
	.section	.rodata,"a",@progbits
	.p2align	6, 0x0
	.amdhsa_kernel fft_rtc_back_len143_factors_13_11_wgs_182_tpt_13_half_op_CI_CI_unitstride_sbrr_dirReg
		.amdhsa_group_segment_fixed_size 0
		.amdhsa_private_segment_fixed_size 0
		.amdhsa_kernarg_size 104
		.amdhsa_user_sgpr_count 6
		.amdhsa_user_sgpr_private_segment_buffer 1
		.amdhsa_user_sgpr_dispatch_ptr 0
		.amdhsa_user_sgpr_queue_ptr 0
		.amdhsa_user_sgpr_kernarg_segment_ptr 1
		.amdhsa_user_sgpr_dispatch_id 0
		.amdhsa_user_sgpr_flat_scratch_init 0
		.amdhsa_user_sgpr_private_segment_size 0
		.amdhsa_wavefront_size32 1
		.amdhsa_uses_dynamic_stack 0
		.amdhsa_system_sgpr_private_segment_wavefront_offset 0
		.amdhsa_system_sgpr_workgroup_id_x 1
		.amdhsa_system_sgpr_workgroup_id_y 0
		.amdhsa_system_sgpr_workgroup_id_z 0
		.amdhsa_system_sgpr_workgroup_info 0
		.amdhsa_system_vgpr_workitem_id 0
		.amdhsa_next_free_vgpr 124
		.amdhsa_next_free_sgpr 27
		.amdhsa_reserve_vcc 1
		.amdhsa_reserve_flat_scratch 0
		.amdhsa_float_round_mode_32 0
		.amdhsa_float_round_mode_16_64 0
		.amdhsa_float_denorm_mode_32 3
		.amdhsa_float_denorm_mode_16_64 3
		.amdhsa_dx10_clamp 1
		.amdhsa_ieee_mode 1
		.amdhsa_fp16_overflow 0
		.amdhsa_workgroup_processor_mode 1
		.amdhsa_memory_ordered 1
		.amdhsa_forward_progress 0
		.amdhsa_shared_vgpr_count 0
		.amdhsa_exception_fp_ieee_invalid_op 0
		.amdhsa_exception_fp_denorm_src 0
		.amdhsa_exception_fp_ieee_div_zero 0
		.amdhsa_exception_fp_ieee_overflow 0
		.amdhsa_exception_fp_ieee_underflow 0
		.amdhsa_exception_fp_ieee_inexact 0
		.amdhsa_exception_int_div_zero 0
	.end_amdhsa_kernel
	.text
.Lfunc_end0:
	.size	fft_rtc_back_len143_factors_13_11_wgs_182_tpt_13_half_op_CI_CI_unitstride_sbrr_dirReg, .Lfunc_end0-fft_rtc_back_len143_factors_13_11_wgs_182_tpt_13_half_op_CI_CI_unitstride_sbrr_dirReg
                                        ; -- End function
	.section	.AMDGPU.csdata,"",@progbits
; Kernel info:
; codeLenInByte = 7200
; NumSgprs: 29
; NumVgprs: 124
; ScratchSize: 0
; MemoryBound: 0
; FloatMode: 240
; IeeeMode: 1
; LDSByteSize: 0 bytes/workgroup (compile time only)
; SGPRBlocks: 3
; VGPRBlocks: 15
; NumSGPRsForWavesPerEU: 29
; NumVGPRsForWavesPerEU: 124
; Occupancy: 8
; WaveLimiterHint : 1
; COMPUTE_PGM_RSRC2:SCRATCH_EN: 0
; COMPUTE_PGM_RSRC2:USER_SGPR: 6
; COMPUTE_PGM_RSRC2:TRAP_HANDLER: 0
; COMPUTE_PGM_RSRC2:TGID_X_EN: 1
; COMPUTE_PGM_RSRC2:TGID_Y_EN: 0
; COMPUTE_PGM_RSRC2:TGID_Z_EN: 0
; COMPUTE_PGM_RSRC2:TIDIG_COMP_CNT: 0
	.text
	.p2alignl 6, 3214868480
	.fill 48, 4, 3214868480
	.type	__hip_cuid_46e5e124b35a6220,@object ; @__hip_cuid_46e5e124b35a6220
	.section	.bss,"aw",@nobits
	.globl	__hip_cuid_46e5e124b35a6220
__hip_cuid_46e5e124b35a6220:
	.byte	0                               ; 0x0
	.size	__hip_cuid_46e5e124b35a6220, 1

	.ident	"AMD clang version 19.0.0git (https://github.com/RadeonOpenCompute/llvm-project roc-6.4.0 25133 c7fe45cf4b819c5991fe208aaa96edf142730f1d)"
	.section	".note.GNU-stack","",@progbits
	.addrsig
	.addrsig_sym __hip_cuid_46e5e124b35a6220
	.amdgpu_metadata
---
amdhsa.kernels:
  - .args:
      - .actual_access:  read_only
        .address_space:  global
        .offset:         0
        .size:           8
        .value_kind:     global_buffer
      - .offset:         8
        .size:           8
        .value_kind:     by_value
      - .actual_access:  read_only
        .address_space:  global
        .offset:         16
        .size:           8
        .value_kind:     global_buffer
      - .actual_access:  read_only
        .address_space:  global
        .offset:         24
        .size:           8
        .value_kind:     global_buffer
      - .actual_access:  read_only
        .address_space:  global
        .offset:         32
        .size:           8
        .value_kind:     global_buffer
      - .offset:         40
        .size:           8
        .value_kind:     by_value
      - .actual_access:  read_only
        .address_space:  global
        .offset:         48
        .size:           8
        .value_kind:     global_buffer
      - .actual_access:  read_only
        .address_space:  global
        .offset:         56
        .size:           8
        .value_kind:     global_buffer
      - .offset:         64
        .size:           4
        .value_kind:     by_value
      - .actual_access:  read_only
        .address_space:  global
        .offset:         72
        .size:           8
        .value_kind:     global_buffer
      - .actual_access:  read_only
        .address_space:  global
        .offset:         80
        .size:           8
        .value_kind:     global_buffer
      - .actual_access:  read_only
        .address_space:  global
        .offset:         88
        .size:           8
        .value_kind:     global_buffer
      - .actual_access:  write_only
        .address_space:  global
        .offset:         96
        .size:           8
        .value_kind:     global_buffer
    .group_segment_fixed_size: 0
    .kernarg_segment_align: 8
    .kernarg_segment_size: 104
    .language:       OpenCL C
    .language_version:
      - 2
      - 0
    .max_flat_workgroup_size: 182
    .name:           fft_rtc_back_len143_factors_13_11_wgs_182_tpt_13_half_op_CI_CI_unitstride_sbrr_dirReg
    .private_segment_fixed_size: 0
    .sgpr_count:     29
    .sgpr_spill_count: 0
    .symbol:         fft_rtc_back_len143_factors_13_11_wgs_182_tpt_13_half_op_CI_CI_unitstride_sbrr_dirReg.kd
    .uniform_work_group_size: 1
    .uses_dynamic_stack: false
    .vgpr_count:     124
    .vgpr_spill_count: 0
    .wavefront_size: 32
    .workgroup_processor_mode: 1
amdhsa.target:   amdgcn-amd-amdhsa--gfx1030
amdhsa.version:
  - 1
  - 2
...

	.end_amdgpu_metadata
